;; amdgpu-corpus repo=ROCm/rocFFT kind=compiled arch=gfx906 opt=O3
	.text
	.amdgcn_target "amdgcn-amd-amdhsa--gfx906"
	.amdhsa_code_object_version 6
	.protected	fft_rtc_back_len624_factors_13_4_6_2_wgs_52_tpt_52_half_ip_CI_unitstride_sbrr_dirReg ; -- Begin function fft_rtc_back_len624_factors_13_4_6_2_wgs_52_tpt_52_half_ip_CI_unitstride_sbrr_dirReg
	.globl	fft_rtc_back_len624_factors_13_4_6_2_wgs_52_tpt_52_half_ip_CI_unitstride_sbrr_dirReg
	.p2align	8
	.type	fft_rtc_back_len624_factors_13_4_6_2_wgs_52_tpt_52_half_ip_CI_unitstride_sbrr_dirReg,@function
fft_rtc_back_len624_factors_13_4_6_2_wgs_52_tpt_52_half_ip_CI_unitstride_sbrr_dirReg: ; @fft_rtc_back_len624_factors_13_4_6_2_wgs_52_tpt_52_half_ip_CI_unitstride_sbrr_dirReg
; %bb.0:
	s_load_dwordx2 s[12:13], s[4:5], 0x50
	s_load_dwordx4 s[8:11], s[4:5], 0x0
	s_load_dwordx2 s[2:3], s[4:5], 0x18
	v_mul_u32_u24_e32 v1, 0x4ed, v0
	v_add_u32_sdwa v5, s6, v1 dst_sel:DWORD dst_unused:UNUSED_PAD src0_sel:DWORD src1_sel:WORD_1
	v_mov_b32_e32 v3, 0
	s_waitcnt lgkmcnt(0)
	v_cmp_lt_u64_e64 s[0:1], s[10:11], 2
	v_mov_b32_e32 v1, 0
	v_mov_b32_e32 v6, v3
	s_and_b64 vcc, exec, s[0:1]
	v_mov_b32_e32 v2, 0
	s_cbranch_vccnz .LBB0_8
; %bb.1:
	s_load_dwordx2 s[0:1], s[4:5], 0x10
	s_add_u32 s6, s2, 8
	s_addc_u32 s7, s3, 0
	v_mov_b32_e32 v1, 0
	v_mov_b32_e32 v2, 0
	s_waitcnt lgkmcnt(0)
	s_add_u32 s14, s0, 8
	s_addc_u32 s15, s1, 0
	s_mov_b64 s[16:17], 1
.LBB0_2:                                ; =>This Inner Loop Header: Depth=1
	s_load_dwordx2 s[18:19], s[14:15], 0x0
                                        ; implicit-def: $vgpr7_vgpr8
	s_waitcnt lgkmcnt(0)
	v_or_b32_e32 v4, s19, v6
	v_cmp_ne_u64_e32 vcc, 0, v[3:4]
	s_and_saveexec_b64 s[0:1], vcc
	s_xor_b64 s[20:21], exec, s[0:1]
	s_cbranch_execz .LBB0_4
; %bb.3:                                ;   in Loop: Header=BB0_2 Depth=1
	v_cvt_f32_u32_e32 v4, s18
	v_cvt_f32_u32_e32 v7, s19
	s_sub_u32 s0, 0, s18
	s_subb_u32 s1, 0, s19
	v_mac_f32_e32 v4, 0x4f800000, v7
	v_rcp_f32_e32 v4, v4
	v_mul_f32_e32 v4, 0x5f7ffffc, v4
	v_mul_f32_e32 v7, 0x2f800000, v4
	v_trunc_f32_e32 v7, v7
	v_mac_f32_e32 v4, 0xcf800000, v7
	v_cvt_u32_f32_e32 v7, v7
	v_cvt_u32_f32_e32 v4, v4
	v_mul_lo_u32 v8, s0, v7
	v_mul_hi_u32 v9, s0, v4
	v_mul_lo_u32 v11, s1, v4
	v_mul_lo_u32 v10, s0, v4
	v_add_u32_e32 v8, v9, v8
	v_add_u32_e32 v8, v8, v11
	v_mul_hi_u32 v9, v4, v10
	v_mul_lo_u32 v11, v4, v8
	v_mul_hi_u32 v13, v4, v8
	v_mul_hi_u32 v12, v7, v10
	v_mul_lo_u32 v10, v7, v10
	v_mul_hi_u32 v14, v7, v8
	v_add_co_u32_e32 v9, vcc, v9, v11
	v_addc_co_u32_e32 v11, vcc, 0, v13, vcc
	v_mul_lo_u32 v8, v7, v8
	v_add_co_u32_e32 v9, vcc, v9, v10
	v_addc_co_u32_e32 v9, vcc, v11, v12, vcc
	v_addc_co_u32_e32 v10, vcc, 0, v14, vcc
	v_add_co_u32_e32 v8, vcc, v9, v8
	v_addc_co_u32_e32 v9, vcc, 0, v10, vcc
	v_add_co_u32_e32 v4, vcc, v4, v8
	v_addc_co_u32_e32 v7, vcc, v7, v9, vcc
	v_mul_lo_u32 v8, s0, v7
	v_mul_hi_u32 v9, s0, v4
	v_mul_lo_u32 v10, s1, v4
	v_mul_lo_u32 v11, s0, v4
	v_add_u32_e32 v8, v9, v8
	v_add_u32_e32 v8, v8, v10
	v_mul_lo_u32 v12, v4, v8
	v_mul_hi_u32 v13, v4, v11
	v_mul_hi_u32 v14, v4, v8
	;; [unrolled: 1-line block ×3, first 2 shown]
	v_mul_lo_u32 v11, v7, v11
	v_mul_hi_u32 v9, v7, v8
	v_add_co_u32_e32 v12, vcc, v13, v12
	v_addc_co_u32_e32 v13, vcc, 0, v14, vcc
	v_mul_lo_u32 v8, v7, v8
	v_add_co_u32_e32 v11, vcc, v12, v11
	v_addc_co_u32_e32 v10, vcc, v13, v10, vcc
	v_addc_co_u32_e32 v9, vcc, 0, v9, vcc
	v_add_co_u32_e32 v8, vcc, v10, v8
	v_addc_co_u32_e32 v9, vcc, 0, v9, vcc
	v_add_co_u32_e32 v4, vcc, v4, v8
	v_addc_co_u32_e32 v9, vcc, v7, v9, vcc
	v_mad_u64_u32 v[7:8], s[0:1], v5, v9, 0
	v_mul_hi_u32 v10, v5, v4
	v_add_co_u32_e32 v11, vcc, v10, v7
	v_addc_co_u32_e32 v12, vcc, 0, v8, vcc
	v_mad_u64_u32 v[7:8], s[0:1], v6, v4, 0
	v_mad_u64_u32 v[9:10], s[0:1], v6, v9, 0
	v_add_co_u32_e32 v4, vcc, v11, v7
	v_addc_co_u32_e32 v4, vcc, v12, v8, vcc
	v_addc_co_u32_e32 v7, vcc, 0, v10, vcc
	v_add_co_u32_e32 v4, vcc, v4, v9
	v_addc_co_u32_e32 v9, vcc, 0, v7, vcc
	v_mul_lo_u32 v10, s19, v4
	v_mul_lo_u32 v11, s18, v9
	v_mad_u64_u32 v[7:8], s[0:1], s18, v4, 0
	v_add3_u32 v8, v8, v11, v10
	v_sub_u32_e32 v10, v6, v8
	v_mov_b32_e32 v11, s19
	v_sub_co_u32_e32 v7, vcc, v5, v7
	v_subb_co_u32_e64 v10, s[0:1], v10, v11, vcc
	v_subrev_co_u32_e64 v11, s[0:1], s18, v7
	v_subbrev_co_u32_e64 v10, s[0:1], 0, v10, s[0:1]
	v_cmp_le_u32_e64 s[0:1], s19, v10
	v_cndmask_b32_e64 v12, 0, -1, s[0:1]
	v_cmp_le_u32_e64 s[0:1], s18, v11
	v_cndmask_b32_e64 v11, 0, -1, s[0:1]
	v_cmp_eq_u32_e64 s[0:1], s19, v10
	v_cndmask_b32_e64 v10, v12, v11, s[0:1]
	v_add_co_u32_e64 v11, s[0:1], 2, v4
	v_addc_co_u32_e64 v12, s[0:1], 0, v9, s[0:1]
	v_add_co_u32_e64 v13, s[0:1], 1, v4
	v_addc_co_u32_e64 v14, s[0:1], 0, v9, s[0:1]
	v_subb_co_u32_e32 v8, vcc, v6, v8, vcc
	v_cmp_ne_u32_e64 s[0:1], 0, v10
	v_cmp_le_u32_e32 vcc, s19, v8
	v_cndmask_b32_e64 v10, v14, v12, s[0:1]
	v_cndmask_b32_e64 v12, 0, -1, vcc
	v_cmp_le_u32_e32 vcc, s18, v7
	v_cndmask_b32_e64 v7, 0, -1, vcc
	v_cmp_eq_u32_e32 vcc, s19, v8
	v_cndmask_b32_e32 v7, v12, v7, vcc
	v_cmp_ne_u32_e32 vcc, 0, v7
	v_cndmask_b32_e64 v7, v13, v11, s[0:1]
	v_cndmask_b32_e32 v8, v9, v10, vcc
	v_cndmask_b32_e32 v7, v4, v7, vcc
.LBB0_4:                                ;   in Loop: Header=BB0_2 Depth=1
	s_andn2_saveexec_b64 s[0:1], s[20:21]
	s_cbranch_execz .LBB0_6
; %bb.5:                                ;   in Loop: Header=BB0_2 Depth=1
	v_cvt_f32_u32_e32 v4, s18
	s_sub_i32 s20, 0, s18
	v_rcp_iflag_f32_e32 v4, v4
	v_mul_f32_e32 v4, 0x4f7ffffe, v4
	v_cvt_u32_f32_e32 v4, v4
	v_mul_lo_u32 v7, s20, v4
	v_mul_hi_u32 v7, v4, v7
	v_add_u32_e32 v4, v4, v7
	v_mul_hi_u32 v4, v5, v4
	v_mul_lo_u32 v7, v4, s18
	v_add_u32_e32 v8, 1, v4
	v_sub_u32_e32 v7, v5, v7
	v_subrev_u32_e32 v9, s18, v7
	v_cmp_le_u32_e32 vcc, s18, v7
	v_cndmask_b32_e32 v7, v7, v9, vcc
	v_cndmask_b32_e32 v4, v4, v8, vcc
	v_add_u32_e32 v8, 1, v4
	v_cmp_le_u32_e32 vcc, s18, v7
	v_cndmask_b32_e32 v7, v4, v8, vcc
	v_mov_b32_e32 v8, v3
.LBB0_6:                                ;   in Loop: Header=BB0_2 Depth=1
	s_or_b64 exec, exec, s[0:1]
	v_mul_lo_u32 v4, v8, s18
	v_mul_lo_u32 v11, v7, s19
	v_mad_u64_u32 v[9:10], s[0:1], v7, s18, 0
	s_load_dwordx2 s[0:1], s[6:7], 0x0
	s_add_u32 s16, s16, 1
	v_add3_u32 v4, v10, v11, v4
	v_sub_co_u32_e32 v5, vcc, v5, v9
	v_subb_co_u32_e32 v4, vcc, v6, v4, vcc
	s_waitcnt lgkmcnt(0)
	v_mul_lo_u32 v4, s0, v4
	v_mul_lo_u32 v6, s1, v5
	v_mad_u64_u32 v[1:2], s[0:1], s0, v5, v[1:2]
	s_addc_u32 s17, s17, 0
	s_add_u32 s6, s6, 8
	v_add3_u32 v2, v6, v2, v4
	v_mov_b32_e32 v4, s10
	v_mov_b32_e32 v5, s11
	s_addc_u32 s7, s7, 0
	v_cmp_ge_u64_e32 vcc, s[16:17], v[4:5]
	s_add_u32 s14, s14, 8
	s_addc_u32 s15, s15, 0
	s_cbranch_vccnz .LBB0_9
; %bb.7:                                ;   in Loop: Header=BB0_2 Depth=1
	v_mov_b32_e32 v5, v7
	v_mov_b32_e32 v6, v8
	s_branch .LBB0_2
.LBB0_8:
	v_mov_b32_e32 v8, v6
	v_mov_b32_e32 v7, v5
.LBB0_9:
	s_lshl_b64 s[0:1], s[10:11], 3
	s_add_u32 s0, s2, s0
	s_addc_u32 s1, s3, s1
	s_load_dwordx2 s[2:3], s[0:1], 0x0
	s_load_dwordx2 s[6:7], s[4:5], 0x20
                                        ; implicit-def: $vgpr9
                                        ; implicit-def: $vgpr10
                                        ; implicit-def: $vgpr11
                                        ; implicit-def: $vgpr12
                                        ; implicit-def: $vgpr13
                                        ; implicit-def: $vgpr14
                                        ; implicit-def: $vgpr15
                                        ; implicit-def: $vgpr16
                                        ; implicit-def: $vgpr17
                                        ; implicit-def: $vgpr18
	s_waitcnt lgkmcnt(0)
	v_mad_u64_u32 v[1:2], s[0:1], s2, v7, v[1:2]
	s_mov_b32 s0, 0x4ec4ec5
	v_mul_lo_u32 v3, s2, v8
	v_mul_lo_u32 v4, s3, v7
	v_mul_hi_u32 v5, v0, s0
	v_cmp_gt_u64_e32 vcc, s[6:7], v[7:8]
                                        ; implicit-def: $vgpr7
                                        ; implicit-def: $vgpr8
	v_add3_u32 v2, v4, v2, v3
	v_mul_u32_u24_e32 v3, 52, v5
	v_sub_u32_e32 v0, v0, v3
	v_cmp_gt_u32_e64 s[0:1], 48, v0
	v_lshlrev_b64 v[2:3], 2, v[1:2]
	s_and_b64 s[2:3], vcc, s[0:1]
	v_mov_b32_e32 v1, 0
	s_and_saveexec_b64 s[4:5], s[2:3]
	s_cbranch_execz .LBB0_11
; %bb.10:
	v_mov_b32_e32 v1, 0
	v_mov_b32_e32 v4, s13
	v_add_co_u32_e64 v6, s[2:3], s12, v2
	v_addc_co_u32_e64 v7, s[2:3], v4, v3, s[2:3]
	v_lshlrev_b64 v[4:5], 2, v[0:1]
	v_add_co_u32_e64 v4, s[2:3], v6, v4
	v_addc_co_u32_e64 v5, s[2:3], v7, v5, s[2:3]
	global_load_dword v1, v[4:5], off
	global_load_dword v17, v[4:5], off offset:192
	global_load_dword v15, v[4:5], off offset:384
	;; [unrolled: 1-line block ×12, first 2 shown]
.LBB0_11:
	s_or_b64 exec, exec, s[4:5]
	s_and_saveexec_b64 s[2:3], s[0:1]
	s_cbranch_execz .LBB0_13
; %bb.12:
	s_waitcnt vmcnt(0)
	v_pk_add_f16 v5, v17, v18 neg_lo:[0,1] neg_hi:[0,1]
	v_pk_add_f16 v4, v17, v18
	v_mul_f16_e32 v19, 0xba95, v5
	v_lshrrev_b32_e32 v6, 16, v4
	s_movk_i32 s0, 0x388b
	v_pk_add_f16 v21, v15, v16 neg_lo:[0,1] neg_hi:[0,1]
	v_pk_add_f16 v23, v15, v16
	s_mov_b32 s1, 0xb5ac
	v_fma_f16 v20, v6, s0, -v19
	v_mul_f16_e32 v22, 0xbb7b, v21
	v_lshrrev_b32_e32 v24, 16, v23
	v_add_f16_sdwa v20, v1, v20 dst_sel:DWORD dst_unused:UNUSED_PAD src0_sel:WORD_1 src1_sel:DWORD
	v_fma_f16 v25, v24, s1, -v22
	v_add_f16_e32 v20, v25, v20
	v_pk_add_f16 v25, v13, v14 neg_lo:[0,1] neg_hi:[0,1]
	v_pk_add_f16 v27, v13, v14
	s_mov_b32 s4, 0xbbc4
	v_mul_f16_e32 v26, 0xb3a8, v25
	v_lshrrev_b32_e32 v28, 16, v27
	v_fma_f16 v29, v28, s4, -v26
	v_add_f16_e32 v20, v29, v20
	v_pk_add_f16 v29, v11, v12 neg_lo:[0,1] neg_hi:[0,1]
	v_pk_add_f16 v31, v11, v12
	s_mov_b32 s5, 0xb9fd
	v_mul_f16_e32 v30, 0x394e, v29
	v_lshrrev_b32_e32 v32, 16, v31
	v_fma_f16 v33, v32, s5, -v30
	v_add_f16_e32 v20, v33, v20
	v_pk_add_f16 v33, v9, v10 neg_lo:[0,1] neg_hi:[0,1]
	v_pk_add_f16 v35, v9, v10
	s_movk_i32 s6, 0x2fb7
	v_mul_f16_e32 v34, 0x3bf1, v33
	v_lshrrev_b32_e32 v36, 16, v35
	v_fma_f16 v37, v36, s6, -v34
	v_add_f16_e32 v20, v37, v20
	v_pk_add_f16 v37, v7, v8 neg_lo:[0,1] neg_hi:[0,1]
	v_pk_add_f16 v39, v7, v8
	s_movk_i32 s7, 0x3b15
	v_mul_f16_e32 v38, 0x3770, v37
	v_lshrrev_b32_e32 v40, 16, v39
	v_fma_f16 v41, v40, s7, -v38
	v_add_f16_e32 v20, v41, v20
	s_mov_b32 s16, 0xba95
	v_mul_f16_e32 v41, 0x388b, v4
	v_lshrrev_b32_e32 v42, 16, v5
	s_mov_b32 s10, 0xbb7b
	v_fma_f16 v43, v42, s16, v41
	v_mul_f16_e32 v44, 0xb5ac, v23
	v_lshrrev_b32_e32 v45, 16, v21
	v_add_f16_e32 v43, v1, v43
	v_fma_f16 v46, v45, s10, v44
	v_add_f16_e32 v43, v46, v43
	s_mov_b32 s14, 0xb3a8
	v_mul_f16_e32 v46, 0xbbc4, v27
	v_lshrrev_b32_e32 v47, 16, v25
	v_fma_f16 v48, v47, s14, v46
	v_add_f16_e32 v43, v48, v43
	s_movk_i32 s17, 0x394e
	v_mul_f16_e32 v48, 0xb9fd, v31
	v_lshrrev_b32_e32 v49, 16, v29
	v_fma_f16 v50, v49, s17, v48
	v_add_f16_e32 v43, v50, v43
	s_movk_i32 s11, 0x3bf1
	;; [unrolled: 5-line block ×3, first 2 shown]
	v_mul_f16_e32 v52, 0x3b15, v39
	v_lshrrev_b32_e32 v53, 16, v37
	v_fma_f16 v54, v53, s15, v52
	v_add_f16_e32 v43, v54, v43
	v_mul_f16_e32 v54, 0xb770, v5
	v_fma_f16 v55, v6, s7, -v54
	v_mul_f16_e32 v56, 0xba95, v21
	v_add_f16_sdwa v55, v1, v55 dst_sel:DWORD dst_unused:UNUSED_PAD src0_sel:WORD_1 src1_sel:DWORD
	v_fma_f16 v57, v24, s0, -v56
	v_add_f16_e32 v55, v57, v55
	v_mul_f16_e32 v57, 0xbbf1, v25
	v_fma_f16 v58, v28, s6, -v57
	v_add_f16_e32 v55, v58, v55
	v_mul_f16_e32 v58, 0xbb7b, v29
	;; [unrolled: 3-line block ×5, first 2 shown]
	v_fma_f16 v62, v4, s7, v61
	v_mul_f16_e32 v63, 0xba95, v45
	v_add_f16_e32 v62, v1, v62
	v_fma_f16 v64, v23, s0, v63
	v_add_f16_e32 v62, v64, v62
	v_mul_f16_e32 v64, 0xbbf1, v47
	v_fma_f16 v65, v27, s6, v64
	v_add_f16_e32 v62, v65, v62
	v_mul_f16_e32 v65, 0xbb7b, v49
	;; [unrolled: 3-line block ×4, first 2 shown]
	v_fma_f16 v68, v39, s4, v67
	v_add_f16_e32 v62, v68, v62
	v_pack_b32_f16 v20, v43, v20
	v_pack_b32_f16 v43, v62, v55
	v_mad_u32_u24 v55, v0, 52, 0
	ds_write2_b32 v55, v43, v20 offset0:1 offset1:2
	v_mul_f16_e32 v20, 0xbb7b, v5
	v_fma_f16 v43, v6, s1, -v20
	v_mul_f16_e32 v62, 0x394e, v21
	v_add_f16_sdwa v43, v1, v43 dst_sel:DWORD dst_unused:UNUSED_PAD src0_sel:WORD_1 src1_sel:DWORD
	v_fma_f16 v68, v24, s5, -v62
	v_add_f16_e32 v43, v68, v43
	v_mul_f16_e32 v68, 0x3770, v25
	v_fma_f16 v69, v28, s7, -v68
	v_add_f16_e32 v43, v69, v43
	v_mul_f16_e32 v69, 0xbbf1, v29
	;; [unrolled: 3-line block ×5, first 2 shown]
	v_fma_f16 v73, v42, s10, v72
	v_mul_f16_e32 v74, 0xb9fd, v23
	v_add_f16_e32 v73, v1, v73
	v_fma_f16 v75, v45, s17, v74
	v_add_f16_e32 v73, v75, v73
	v_mul_f16_e32 v75, 0x3b15, v27
	v_fma_f16 v76, v47, s15, v75
	v_add_f16_e32 v73, v76, v73
	s_mov_b32 s19, 0xbbf1
	v_mul_f16_e32 v76, 0x2fb7, v31
	v_fma_f16 v77, v49, s19, v76
	v_add_f16_e32 v73, v77, v73
	s_movk_i32 s20, 0x33a8
	v_mul_f16_e32 v77, 0xbbc4, v35
	v_fma_f16 v78, v51, s20, v77
	v_add_f16_e32 v73, v78, v73
	s_movk_i32 s18, 0x3a95
	v_mul_f16_e32 v78, 0x388b, v39
	v_fma_f16 v79, v53, s18, v78
	v_add_f16_e32 v73, v79, v73
	v_mul_f16_e32 v79, 0xbbf1, v5
	v_fma_f16 v80, v6, s6, -v79
	v_mul_f16_e32 v81, 0xb3a8, v21
	v_add_f16_sdwa v80, v1, v80 dst_sel:DWORD dst_unused:UNUSED_PAD src0_sel:WORD_1 src1_sel:DWORD
	v_fma_f16 v82, v24, s4, -v81
	v_add_f16_e32 v80, v82, v80
	v_mul_f16_e32 v82, 0x3b7b, v25
	v_fma_f16 v83, v28, s1, -v82
	v_add_f16_e32 v80, v83, v80
	v_mul_f16_e32 v83, 0x3770, v29
	;; [unrolled: 3-line block ×5, first 2 shown]
	v_fma_f16 v87, v42, s19, v86
	v_mul_f16_e32 v88, 0xbbc4, v23
	v_add_f16_e32 v87, v1, v87
	v_fma_f16 v89, v45, s14, v88
	v_add_f16_e32 v87, v89, v87
	s_movk_i32 s21, 0x3b7b
	v_mul_f16_e32 v89, 0xb5ac, v27
	v_fma_f16 v90, v47, s21, v89
	v_add_f16_e32 v87, v90, v87
	v_mul_f16_e32 v90, 0x3b15, v31
	v_fma_f16 v91, v49, s15, v90
	v_add_f16_e32 v87, v91, v87
	;; [unrolled: 3-line block ×3, first 2 shown]
	s_mov_b32 s22, 0xb94e
	v_mul_f16_e32 v92, 0xb9fd, v39
	v_fma_f16 v93, v53, s22, v92
	v_add_f16_e32 v87, v93, v87
	v_pack_b32_f16 v43, v73, v43
	v_pack_b32_f16 v73, v87, v80
	ds_write2_b32 v55, v73, v43 offset0:3 offset1:4
	v_mul_f16_e32 v43, 0xb94e, v5
	v_fma_f16 v73, v6, s5, -v43
	v_mul_f16_e32 v80, 0x3bf1, v21
	v_add_f16_sdwa v73, v1, v73 dst_sel:DWORD dst_unused:UNUSED_PAD src0_sel:WORD_1 src1_sel:DWORD
	v_fma_f16 v87, v24, s6, -v80
	v_add_f16_e32 v73, v87, v73
	v_mul_f16_e32 v87, 0xba95, v25
	v_fma_f16 v93, v28, s0, -v87
	v_add_f16_e32 v73, v93, v73
	v_mul_f16_e32 v93, 0x33a8, v29
	;; [unrolled: 3-line block ×5, first 2 shown]
	v_fma_f16 v97, v42, s22, v96
	v_mul_f16_e32 v98, 0x2fb7, v23
	v_pk_add_f16 v17, v1, v17
	v_add_f16_e32 v97, v1, v97
	v_fma_f16 v99, v45, s11, v98
	v_pk_add_f16 v15, v17, v15
	v_add_f16_e32 v97, v99, v97
	v_mul_f16_e32 v99, 0x388b, v27
	v_pk_add_f16 v13, v15, v13
	v_fma_f16 v100, v47, s16, v99
	v_pk_add_f16 v11, v13, v11
	v_add_f16_e32 v97, v100, v97
	v_mul_f16_e32 v100, 0xbbc4, v31
	v_pk_add_f16 v9, v11, v9
	v_fma_f16 v101, v49, s20, v100
	v_pk_add_f16 v7, v9, v7
	v_add_f16_e32 v97, v101, v97
	v_mul_f16_e32 v101, 0x3b15, v35
	v_pk_add_f16 v7, v7, v8
	v_fma_f16 v102, v51, s15, v101
	v_pk_add_f16 v7, v7, v10
	v_add_f16_e32 v97, v102, v97
	v_mul_f16_e32 v102, 0xb5ac, v39
	v_pk_add_f16 v7, v7, v12
	v_fma_f16 v103, v53, s10, v102
	v_pk_add_f16 v7, v7, v14
	v_add_f16_e32 v97, v103, v97
	v_pk_add_f16 v7, v7, v16
	v_pk_add_f16 v7, v7, v18
	v_pack_b32_f16 v8, v97, v73
	ds_write2_b32 v55, v7, v8 offset1:5
	v_fma_f16 v7, v6, s0, v19
	v_add_f16_sdwa v7, v1, v7 dst_sel:DWORD dst_unused:UNUSED_PAD src0_sel:WORD_1 src1_sel:DWORD
	v_fma_f16 v8, v24, s1, v22
	v_add_f16_e32 v7, v8, v7
	v_fma_f16 v8, v28, s4, v26
	v_add_f16_e32 v7, v8, v7
	;; [unrolled: 2-line block ×9, first 2 shown]
	v_fma_f16 v9, v51, s19, v50
	s_mov_b32 s23, 0xb770
	v_add_f16_e32 v8, v9, v8
	v_fma_f16 v9, v53, s23, v52
	v_add_f16_e32 v8, v9, v8
	v_fma_f16 v9, v6, s6, v79
	v_add_f16_sdwa v9, v1, v9 dst_sel:DWORD dst_unused:UNUSED_PAD src0_sel:WORD_1 src1_sel:DWORD
	v_fma_f16 v10, v24, s4, v81
	v_add_f16_e32 v9, v10, v9
	v_fma_f16 v10, v28, s1, v82
	v_add_f16_e32 v9, v10, v9
	;; [unrolled: 2-line block ×11, first 2 shown]
	v_fma_f16 v11, v6, s1, v20
	v_add_f16_sdwa v11, v1, v11 dst_sel:DWORD dst_unused:UNUSED_PAD src0_sel:WORD_1 src1_sel:DWORD
	v_fma_f16 v12, v24, s5, v62
	v_add_f16_e32 v11, v12, v11
	v_fma_f16 v12, v28, s7, v68
	v_add_f16_e32 v11, v12, v11
	;; [unrolled: 2-line block ×11, first 2 shown]
	v_fma_f16 v13, v6, s5, v43
	v_add_f16_sdwa v13, v1, v13 dst_sel:DWORD dst_unused:UNUSED_PAD src0_sel:WORD_1 src1_sel:DWORD
	v_fma_f16 v14, v24, s6, v80
	v_add_f16_e32 v13, v14, v13
	v_fma_f16 v14, v28, s0, v87
	v_add_f16_e32 v13, v14, v13
	;; [unrolled: 2-line block ×5, first 2 shown]
	v_fma_f16 v14, v42, s17, v96
	v_fma_f16 v15, v45, s19, v98
	v_add_f16_e32 v14, v1, v14
	v_add_f16_e32 v14, v15, v14
	v_fma_f16 v15, v47, s18, v99
	v_add_f16_e32 v14, v15, v14
	v_fma_f16 v15, v49, s14, v100
	;; [unrolled: 2-line block ×4, first 2 shown]
	v_fma_f16 v6, v6, s7, v54
	v_add_f16_e32 v14, v15, v14
	v_fma_f16 v15, v24, s0, v56
	v_add_f16_sdwa v6, v1, v6 dst_sel:DWORD dst_unused:UNUSED_PAD src0_sel:WORD_1 src1_sel:DWORD
	v_add_f16_e32 v6, v15, v6
	v_fma_f16 v15, v28, s6, v57
	v_add_f16_e32 v6, v15, v6
	v_fma_f16 v15, v32, s1, v58
	v_add_f16_e32 v6, v15, v6
	v_fma_f16 v15, v36, s5, v59
	v_add_f16_e32 v6, v15, v6
	v_fma_f16 v15, v40, s4, v60
	v_add_f16_e32 v6, v15, v6
	v_fma_f16 v15, v4, s7, -v61
	v_add_f16_e32 v15, v1, v15
	v_fma_f16 v16, v23, s0, -v63
	;; [unrolled: 2-line block ×6, first 2 shown]
	v_pk_mul_f16 v5, v5, s14 op_sel_hi:[1,0]
	v_add_f16_e32 v15, v16, v15
	v_pk_fma_f16 v16, v4, s4, v5 op_sel:[0,0,1] op_sel_hi:[1,0,0]
	v_pk_mul_f16 v17, v21, s15 op_sel_hi:[1,0]
	v_pk_add_f16 v16, v1, v16
	v_pk_fma_f16 v18, v23, s7, v17 op_sel:[0,0,1] op_sel_hi:[1,0,0]
	v_pk_add_f16 v16, v18, v16
	v_pk_mul_f16 v18, v25, s22 op_sel_hi:[1,0]
	v_pk_fma_f16 v19, v27, s5, v18 op_sel:[0,0,1] op_sel_hi:[1,0,0]
	v_pk_add_f16 v16, v19, v16
	v_pk_mul_f16 v19, v29, s18 op_sel_hi:[1,0]
	v_pk_fma_f16 v4, v4, s4, v5 op_sel:[0,0,1] op_sel_hi:[1,0,0] neg_lo:[0,0,1] neg_hi:[0,0,1]
	v_pk_fma_f16 v20, v31, s0, v19 op_sel:[0,0,1] op_sel_hi:[1,0,0]
	v_pk_add_f16 v1, v1, v4
	v_pk_fma_f16 v4, v23, s7, v17 op_sel:[0,0,1] op_sel_hi:[1,0,0] neg_lo:[0,0,1] neg_hi:[0,0,1]
	v_pk_add_f16 v16, v20, v16
	v_pk_mul_f16 v20, v33, s10 op_sel_hi:[1,0]
	v_pk_add_f16 v1, v4, v1
	v_pk_fma_f16 v4, v27, s5, v18 op_sel:[0,0,1] op_sel_hi:[1,0,0] neg_lo:[0,0,1] neg_hi:[0,0,1]
	v_pk_fma_f16 v21, v35, s1, v20 op_sel:[0,0,1] op_sel_hi:[1,0,0]
	v_pk_add_f16 v1, v4, v1
	v_pk_fma_f16 v4, v31, s0, v19 op_sel:[0,0,1] op_sel_hi:[1,0,0] neg_lo:[0,0,1] neg_hi:[0,0,1]
	v_pk_add_f16 v16, v21, v16
	v_pk_mul_f16 v21, v37, s11 op_sel_hi:[1,0]
	v_pk_add_f16 v1, v4, v1
	v_pk_fma_f16 v4, v35, s1, v20 op_sel:[0,0,1] op_sel_hi:[1,0,0] neg_lo:[0,0,1] neg_hi:[0,0,1]
	v_pk_fma_f16 v22, v39, s6, v21 op_sel:[0,0,1] op_sel_hi:[1,0,0]
	v_pk_add_f16 v1, v4, v1
	v_pk_fma_f16 v4, v39, s6, v21 op_sel:[0,0,1] op_sel_hi:[1,0,0] neg_lo:[0,0,1] neg_hi:[0,0,1]
	v_pk_add_f16 v16, v22, v16
	v_pk_add_f16 v1, v4, v1
	s_mov_b32 s0, 0xffff
	v_bfi_b32 v4, s0, v1, v16
	v_bfi_b32 v1, s0, v16, v1
	ds_write2_b32 v55, v1, v4 offset0:6 offset1:7
	v_pack_b32_f16 v1, v12, v11
	v_pack_b32_f16 v4, v14, v13
	ds_write2_b32 v55, v4, v1 offset0:8 offset1:9
	v_pack_b32_f16 v1, v8, v7
	v_pack_b32_f16 v4, v10, v9
	ds_write2_b32 v55, v4, v1 offset0:10 offset1:11
	v_pack_b32_f16 v1, v15, v6
	ds_write_b32 v55, v1 offset:48
.LBB0_13:
	s_or_b64 exec, exec, s[2:3]
	s_movk_i32 s0, 0x4f
	s_waitcnt vmcnt(12)
	v_mul_lo_u16_sdwa v1, v0, s0 dst_sel:DWORD dst_unused:UNUSED_PAD src0_sel:BYTE_0 src1_sel:DWORD
	v_lshrrev_b16_e32 v1, 10, v1
	v_add_u16_e32 v6, 52, v0
	v_mul_lo_u16_e32 v4, 13, v1
	s_waitcnt vmcnt(6)
	v_mul_lo_u16_sdwa v7, v6, s0 dst_sel:DWORD dst_unused:UNUSED_PAD src0_sel:BYTE_0 src1_sel:DWORD
	v_sub_u16_e32 v29, v0, v4
	v_mov_b32_e32 v4, 3
	v_lshrrev_b16_e32 v30, 10, v7
	v_mul_u32_u24_sdwa v5, v29, v4 dst_sel:DWORD dst_unused:UNUSED_PAD src0_sel:BYTE_0 src1_sel:DWORD
	v_mul_lo_u16_e32 v7, 13, v30
	v_lshlrev_b32_e32 v5, 2, v5
	v_sub_u16_e32 v31, v6, v7
	s_waitcnt lgkmcnt(0)
	; wave barrier
	s_waitcnt lgkmcnt(0)
	global_load_dwordx3 v[8:10], v5, s[8:9]
	v_mul_u32_u24_sdwa v5, v31, v4 dst_sel:DWORD dst_unused:UNUSED_PAD src0_sel:BYTE_0 src1_sel:DWORD
	v_lshlrev_b32_e32 v5, 2, v5
	global_load_dwordx3 v[11:13], v5, s[8:9]
	v_add_u16_e32 v5, 0x68, v0
	v_mul_lo_u16_sdwa v6, v5, s0 dst_sel:DWORD dst_unused:UNUSED_PAD src0_sel:BYTE_0 src1_sel:DWORD
	v_lshrrev_b16_e32 v32, 10, v6
	v_mul_lo_u16_e32 v6, 13, v32
	v_sub_u16_e32 v33, v5, v6
	v_mul_u32_u24_sdwa v4, v33, v4 dst_sel:DWORD dst_unused:UNUSED_PAD src0_sel:BYTE_0 src1_sel:DWORD
	v_lshlrev_b32_e32 v4, 2, v4
	global_load_dwordx3 v[14:16], v4, s[8:9]
	v_lshl_add_u32 v4, v0, 2, 0
	v_add_u32_e32 v5, 0x400, v4
	s_waitcnt vmcnt(3)
	ds_read2_b32 v[17:18], v4 offset1:52
	ds_read2_b32 v[19:20], v4 offset0:104 offset1:156
	v_add_u32_e32 v6, 0x200, v4
	v_add_u32_e32 v7, 0x800, v4
	ds_read2_b32 v[21:22], v5 offset0:56 offset1:108
	ds_read2_b32 v[23:24], v7 offset0:8 offset1:60
	;; [unrolled: 1-line block ×4, first 2 shown]
	s_waitcnt lgkmcnt(5)
	v_lshrrev_b32_e32 v35, 16, v17
	s_waitcnt lgkmcnt(4)
	v_lshrrev_b32_e32 v34, 16, v20
	;; [unrolled: 2-line block ×5, first 2 shown]
	v_lshrrev_b32_e32 v37, 16, v26
	v_lshrrev_b32_e32 v42, 16, v25
	;; [unrolled: 1-line block ×5, first 2 shown]
	v_mul_u32_u24_e32 v1, 0xd0, v1
	s_waitcnt lgkmcnt(0)
	; wave barrier
	s_mov_b32 s0, 0xbaee
	s_movk_i32 s1, 0x3aee
	s_waitcnt vmcnt(2)
	v_mul_f16_sdwa v44, v8, v34 dst_sel:DWORD dst_unused:UNUSED_PAD src0_sel:WORD_1 src1_sel:DWORD
	v_mul_f16_sdwa v45, v8, v20 dst_sel:DWORD dst_unused:UNUSED_PAD src0_sel:WORD_1 src1_sel:DWORD
	;; [unrolled: 1-line block ×6, first 2 shown]
	v_fma_f16 v20, v8, v20, v44
	v_fma_f16 v8, v8, v34, -v45
	v_fma_f16 v21, v9, v21, v46
	v_fma_f16 v9, v9, v40, -v47
	;; [unrolled: 2-line block ×3, first 2 shown]
	v_sub_f16_e32 v21, v17, v21
	v_sub_f16_e32 v9, v35, v9
	v_sub_f16_e32 v28, v20, v28
	v_sub_f16_e32 v10, v8, v10
	s_waitcnt vmcnt(1)
	v_mul_f16_sdwa v50, v11, v42 dst_sel:DWORD dst_unused:UNUSED_PAD src0_sel:WORD_1 src1_sel:DWORD
	v_mul_f16_sdwa v51, v11, v25 dst_sel:DWORD dst_unused:UNUSED_PAD src0_sel:WORD_1 src1_sel:DWORD
	;; [unrolled: 1-line block ×4, first 2 shown]
	v_mul_f16_sdwa v54, v36, v13 dst_sel:DWORD dst_unused:UNUSED_PAD src0_sel:DWORD src1_sel:WORD_1
	v_mul_f16_sdwa v55, v23, v13 dst_sel:DWORD dst_unused:UNUSED_PAD src0_sel:DWORD src1_sel:WORD_1
	s_waitcnt vmcnt(0)
	v_mul_f16_sdwa v56, v37, v14 dst_sel:DWORD dst_unused:UNUSED_PAD src0_sel:DWORD src1_sel:WORD_1
	v_mul_f16_sdwa v57, v26, v14 dst_sel:DWORD dst_unused:UNUSED_PAD src0_sel:DWORD src1_sel:WORD_1
	v_fma_f16 v17, v17, 2.0, -v21
	v_fma_f16 v34, v35, 2.0, -v9
	;; [unrolled: 1-line block ×4, first 2 shown]
	v_fma_f16 v25, v11, v25, v50
	v_fma_f16 v11, v11, v42, -v51
	v_fma_f16 v22, v12, v22, v52
	v_fma_f16 v12, v12, v43, -v53
	;; [unrolled: 2-line block ×4, first 2 shown]
	v_sub_f16_e32 v20, v17, v20
	v_sub_f16_e32 v8, v34, v8
	v_add_f16_e32 v10, v21, v10
	v_sub_f16_e32 v28, v9, v28
	v_lshrrev_b32_e32 v35, 16, v18
	v_mov_b32_e32 v37, 2
	v_fma_f16 v17, v17, 2.0, -v20
	v_fma_f16 v34, v34, 2.0, -v8
	;; [unrolled: 1-line block ×4, first 2 shown]
	v_sub_f16_e32 v22, v18, v22
	v_sub_f16_e32 v12, v35, v12
	;; [unrolled: 1-line block ×4, first 2 shown]
	v_lshlrev_b32_sdwa v29, v37, v29 dst_sel:DWORD dst_unused:UNUSED_PAD src0_sel:DWORD src1_sel:BYTE_0
	v_mul_f16_sdwa v58, v38, v15 dst_sel:DWORD dst_unused:UNUSED_PAD src0_sel:DWORD src1_sel:WORD_1
	v_mul_f16_sdwa v59, v27, v15 dst_sel:DWORD dst_unused:UNUSED_PAD src0_sel:DWORD src1_sel:WORD_1
	v_mul_f16_sdwa v60, v39, v16 dst_sel:DWORD dst_unused:UNUSED_PAD src0_sel:DWORD src1_sel:WORD_1
	v_mul_f16_sdwa v61, v24, v16 dst_sel:DWORD dst_unused:UNUSED_PAD src0_sel:DWORD src1_sel:WORD_1
	v_fma_f16 v18, v18, 2.0, -v22
	v_fma_f16 v35, v35, 2.0, -v12
	v_fma_f16 v25, v25, 2.0, -v23
	v_fma_f16 v11, v11, 2.0, -v13
	v_add3_u32 v1, 0, v1, v29
	v_pack_b32_f16 v17, v17, v34
	v_pack_b32_f16 v9, v21, v9
	v_fma_f16 v27, v27, v15, v58
	v_fma_f16 v15, v38, v15, -v59
	v_fma_f16 v24, v24, v16, v60
	v_fma_f16 v16, v39, v16, -v61
	v_sub_f16_e32 v25, v18, v25
	v_sub_f16_e32 v11, v35, v11
	v_add_f16_e32 v13, v22, v13
	v_sub_f16_e32 v23, v12, v23
	v_lshrrev_b32_e32 v36, 16, v19
	ds_write2_b32 v1, v17, v9 offset1:13
	v_pack_b32_f16 v8, v20, v8
	v_pack_b32_f16 v9, v10, v28
	v_fma_f16 v18, v18, 2.0, -v25
	v_fma_f16 v35, v35, 2.0, -v11
	;; [unrolled: 1-line block ×4, first 2 shown]
	v_sub_f16_e32 v27, v19, v27
	v_sub_f16_e32 v15, v36, v15
	;; [unrolled: 1-line block ×4, first 2 shown]
	ds_write2_b32 v1, v8, v9 offset0:26 offset1:39
	v_mul_u32_u24_e32 v1, 0xd0, v30
	v_lshlrev_b32_sdwa v8, v37, v31 dst_sel:DWORD dst_unused:UNUSED_PAD src0_sel:DWORD src1_sel:BYTE_0
	v_fma_f16 v19, v19, 2.0, -v27
	v_fma_f16 v36, v36, 2.0, -v15
	;; [unrolled: 1-line block ×4, first 2 shown]
	v_add3_u32 v1, 0, v1, v8
	v_pack_b32_f16 v8, v18, v35
	v_pack_b32_f16 v9, v22, v12
	v_sub_f16_e32 v26, v19, v26
	v_sub_f16_e32 v14, v36, v14
	v_add_f16_e32 v16, v27, v16
	v_sub_f16_e32 v24, v15, v24
	ds_write2_b32 v1, v8, v9 offset1:13
	v_pack_b32_f16 v8, v25, v11
	v_pack_b32_f16 v9, v13, v23
	v_fma_f16 v19, v19, 2.0, -v26
	v_fma_f16 v36, v36, 2.0, -v14
	;; [unrolled: 1-line block ×4, first 2 shown]
	ds_write2_b32 v1, v8, v9 offset0:26 offset1:39
	v_mul_u32_u24_e32 v1, 0xd0, v32
	v_lshlrev_b32_sdwa v8, v37, v33 dst_sel:DWORD dst_unused:UNUSED_PAD src0_sel:DWORD src1_sel:BYTE_0
	v_add3_u32 v1, 0, v1, v8
	v_pack_b32_f16 v8, v19, v36
	v_pack_b32_f16 v9, v27, v15
	ds_write2_b32 v1, v8, v9 offset1:13
	v_pack_b32_f16 v8, v26, v14
	v_pack_b32_f16 v9, v16, v24
	ds_write2_b32 v1, v8, v9 offset0:26 offset1:39
	v_mul_u32_u24_e32 v1, 5, v0
	v_lshlrev_b32_e32 v1, 2, v1
	s_waitcnt lgkmcnt(0)
	; wave barrier
	s_waitcnt lgkmcnt(0)
	global_load_dwordx4 v[8:11], v1, s[8:9] offset:156
	global_load_dword v24, v1, s[8:9] offset:172
	ds_read2_b32 v[12:13], v4 offset1:52
	ds_read2_b32 v[14:15], v4 offset0:104 offset1:156
	ds_read2_b32 v[16:17], v6 offset0:80 offset1:132
	;; [unrolled: 1-line block ×5, first 2 shown]
	s_waitcnt lgkmcnt(4)
	v_lshrrev_b32_e32 v31, 16, v14
	v_lshrrev_b32_e32 v26, 16, v15
	s_waitcnt lgkmcnt(3)
	v_lshrrev_b32_e32 v27, 16, v17
	s_waitcnt lgkmcnt(2)
	;; [unrolled: 2-line block ×4, first 2 shown]
	v_lshrrev_b32_e32 v30, 16, v23
	v_lshrrev_b32_e32 v1, 16, v12
	;; [unrolled: 1-line block ×3, first 2 shown]
	s_waitcnt lgkmcnt(0)
	; wave barrier
	s_waitcnt vmcnt(1)
	v_mul_f16_sdwa v32, v8, v31 dst_sel:DWORD dst_unused:UNUSED_PAD src0_sel:WORD_1 src1_sel:DWORD
	v_fma_f16 v32, v8, v14, v32
	v_mul_f16_sdwa v14, v8, v14 dst_sel:DWORD dst_unused:UNUSED_PAD src0_sel:WORD_1 src1_sel:DWORD
	v_fma_f16 v14, v8, v31, -v14
	v_lshrrev_b32_e32 v31, 16, v16
	v_mul_f16_sdwa v33, v9, v31 dst_sel:DWORD dst_unused:UNUSED_PAD src0_sel:WORD_1 src1_sel:DWORD
	v_fma_f16 v33, v9, v16, v33
	v_mul_f16_sdwa v16, v9, v16 dst_sel:DWORD dst_unused:UNUSED_PAD src0_sel:WORD_1 src1_sel:DWORD
	v_fma_f16 v16, v9, v31, -v16
	v_lshrrev_b32_e32 v31, 16, v18
	;; [unrolled: 5-line block ×4, first 2 shown]
	s_waitcnt vmcnt(0)
	v_mul_f16_sdwa v36, v24, v31 dst_sel:DWORD dst_unused:UNUSED_PAD src0_sel:WORD_1 src1_sel:DWORD
	v_fma_f16 v36, v24, v22, v36
	v_mul_f16_sdwa v22, v24, v22 dst_sel:DWORD dst_unused:UNUSED_PAD src0_sel:WORD_1 src1_sel:DWORD
	v_fma_f16 v22, v24, v31, -v22
	v_mul_f16_sdwa v31, v26, v8 dst_sel:DWORD dst_unused:UNUSED_PAD src0_sel:DWORD src1_sel:WORD_1
	v_fma_f16 v31, v15, v8, v31
	v_mul_f16_sdwa v15, v15, v8 dst_sel:DWORD dst_unused:UNUSED_PAD src0_sel:DWORD src1_sel:WORD_1
	v_fma_f16 v8, v26, v8, -v15
	v_mul_f16_sdwa v15, v27, v9 dst_sel:DWORD dst_unused:UNUSED_PAD src0_sel:DWORD src1_sel:WORD_1
	v_fma_f16 v15, v17, v9, v15
	v_mul_f16_sdwa v17, v17, v9 dst_sel:DWORD dst_unused:UNUSED_PAD src0_sel:DWORD src1_sel:WORD_1
	;; [unrolled: 4-line block ×4, first 2 shown]
	v_fma_f16 v11, v29, v11, -v21
	v_mul_f16_sdwa v21, v30, v24 dst_sel:DWORD dst_unused:UNUSED_PAD src0_sel:DWORD src1_sel:WORD_1
	v_add_f16_e32 v28, v34, v36
	v_fma_f16 v21, v23, v24, v21
	v_mul_f16_sdwa v23, v23, v24 dst_sel:DWORD dst_unused:UNUSED_PAD src0_sel:DWORD src1_sel:WORD_1
	v_add_f16_e32 v26, v33, v35
	v_fma_f16 v28, v28, -0.5, v32
	v_sub_f16_e32 v29, v18, v22
	v_fma_f16 v23, v30, v24, -v23
	v_add_f16_e32 v24, v12, v33
	v_fma_f16 v12, v26, -0.5, v12
	v_sub_f16_e32 v26, v16, v20
	v_fma_f16 v30, v29, s0, v28
	v_fma_f16 v28, v29, s1, v28
	v_add_f16_e32 v29, v14, v18
	v_add_f16_e32 v18, v18, v22
	v_fma_f16 v27, v26, s0, v12
	v_fma_f16 v12, v26, s1, v12
	v_add_f16_e32 v26, v1, v16
	v_add_f16_e32 v16, v16, v20
	v_fma_f16 v14, v18, -0.5, v14
	v_sub_f16_e32 v18, v34, v36
	v_fma_f16 v1, v16, -0.5, v1
	v_sub_f16_e32 v16, v33, v35
	v_add_f16_e32 v29, v29, v22
	v_fma_f16 v22, v18, s1, v14
	v_add_f16_e32 v26, v26, v20
	v_fma_f16 v20, v16, s1, v1
	v_fma_f16 v1, v16, s0, v1
	v_add_f16_e32 v16, v32, v34
	v_fma_f16 v14, v18, s0, v14
	v_mul_f16_e32 v32, 0xbaee, v22
	v_mul_f16_e32 v22, 0.5, v22
	v_mul_f16_e32 v34, 0xbaee, v14
	v_fma_f16 v22, v30, s1, v22
	v_mul_f16_e32 v14, -0.5, v14
	v_fma_f16 v32, v30, 0.5, v32
	v_add_f16_e32 v30, v20, v22
	v_fma_f16 v14, v28, s1, v14
	v_sub_f16_e32 v20, v20, v22
	v_add_f16_e32 v22, v15, v19
	v_add_f16_e32 v24, v24, v35
	;; [unrolled: 1-line block ×3, first 2 shown]
	v_fma_f16 v34, v28, -0.5, v34
	v_add_f16_e32 v28, v1, v14
	v_sub_f16_e32 v1, v1, v14
	v_add_f16_e32 v14, v13, v15
	v_fma_f16 v13, v22, -0.5, v13
	v_sub_f16_e32 v22, v9, v11
	v_add_f16_e32 v18, v24, v16
	v_add_f16_e32 v33, v27, v32
	v_sub_f16_e32 v16, v24, v16
	v_sub_f16_e32 v24, v27, v32
	v_fma_f16 v27, v22, s0, v13
	v_fma_f16 v13, v22, s1, v13
	v_add_f16_e32 v22, v25, v9
	v_add_f16_e32 v14, v14, v19
	;; [unrolled: 1-line block ×4, first 2 shown]
	v_sub_f16_e32 v11, v15, v19
	v_add_f16_e32 v19, v17, v21
	v_fma_f16 v9, v9, -0.5, v25
	v_fma_f16 v19, v19, -0.5, v31
	v_sub_f16_e32 v25, v10, v23
	v_add_f16_e32 v36, v26, v29
	v_sub_f16_e32 v26, v26, v29
	v_fma_f16 v29, v25, s0, v19
	v_fma_f16 v19, v25, s1, v19
	v_add_f16_e32 v25, v8, v10
	v_add_f16_e32 v10, v10, v23
	v_fma_f16 v8, v10, -0.5, v8
	v_sub_f16_e32 v10, v17, v21
	v_fma_f16 v15, v11, s1, v9
	v_fma_f16 v9, v11, s0, v9
	v_add_f16_e32 v11, v31, v17
	v_fma_f16 v17, v10, s1, v8
	v_fma_f16 v8, v10, s0, v8
	v_add_f16_e32 v11, v11, v21
	v_mul_f16_e32 v21, 0xbaee, v17
	v_mul_f16_e32 v31, 0xbaee, v8
	v_mul_f16_e32 v17, 0.5, v17
	v_mul_f16_e32 v8, -0.5, v8
	v_fma_f16 v17, v29, s1, v17
	v_fma_f16 v8, v19, s1, v8
	v_add_f16_e32 v35, v12, v34
	v_fma_f16 v21, v29, 0.5, v21
	v_fma_f16 v31, v19, -0.5, v31
	v_add_f16_e32 v29, v15, v17
	v_add_f16_e32 v19, v9, v8
	v_sub_f16_e32 v15, v15, v17
	v_sub_f16_e32 v8, v9, v8
	v_pack_b32_f16 v9, v18, v36
	v_pack_b32_f16 v17, v33, v30
	v_sub_f16_e32 v12, v12, v34
	v_add_f16_e32 v25, v25, v23
	ds_write2_b32 v4, v9, v17 offset1:52
	v_pack_b32_f16 v9, v35, v28
	v_pack_b32_f16 v16, v16, v26
	v_add_f16_e32 v10, v14, v11
	v_add_f16_e32 v23, v27, v21
	;; [unrolled: 1-line block ×3, first 2 shown]
	ds_write2_b32 v4, v9, v16 offset0:104 offset1:156
	v_pack_b32_f16 v9, v24, v20
	v_pack_b32_f16 v1, v12, v1
	v_add_f16_e32 v32, v13, v31
	v_sub_f16_e32 v11, v14, v11
	v_sub_f16_e32 v14, v27, v21
	;; [unrolled: 1-line block ×3, first 2 shown]
	ds_write2_b32 v6, v9, v1 offset0:80 offset1:132
	v_pack_b32_f16 v1, v10, v34
	v_pack_b32_f16 v9, v23, v29
	v_sub_f16_e32 v13, v13, v31
	ds_write2_b32 v5, v1, v9 offset0:56 offset1:108
	v_pack_b32_f16 v1, v32, v19
	v_pack_b32_f16 v9, v11, v21
	ds_write2_b32 v5, v1, v9 offset0:160 offset1:212
	v_pack_b32_f16 v1, v14, v15
	v_pack_b32_f16 v8, v13, v8
	ds_write2_b32 v7, v1, v8 offset0:8 offset1:60
	s_waitcnt lgkmcnt(0)
	; wave barrier
	s_waitcnt lgkmcnt(0)
	s_and_saveexec_b64 s[0:1], vcc
	s_cbranch_execz .LBB0_15
; %bb.14:
	v_mov_b32_e32 v1, 0
	v_lshlrev_b64 v[8:9], 2, v[0:1]
	v_mov_b32_e32 v11, s9
	v_add_co_u32_e32 v10, vcc, s8, v8
	v_addc_co_u32_e32 v11, vcc, v11, v9, vcc
	global_load_dword v20, v[10:11], off offset:1196
	global_load_dword v21, v[10:11], off offset:1404
	;; [unrolled: 1-line block ×6, first 2 shown]
	ds_read2_b32 v[10:11], v6 offset0:80 offset1:132
	ds_read2_b32 v[6:7], v7 offset0:8 offset1:60
	;; [unrolled: 1-line block ×4, first 2 shown]
	ds_read2_b32 v[16:17], v4 offset1:52
	ds_read2_b32 v[18:19], v5 offset0:56 offset1:108
	ds_read_u16 v26, v4 offset:1040
	ds_read_u16 v27, v4 offset:832
	;; [unrolled: 1-line block ×5, first 2 shown]
	ds_read_u16 v31, v4
	v_mov_b32_e32 v4, s13
	v_add_u32_e32 v5, 0xd0, v0
	v_add_co_u32_e32 v2, vcc, s12, v2
	s_mov_b32 s1, 0x1a41a41b
	v_addc_co_u32_e32 v32, vcc, v4, v3, vcc
	v_lshrrev_b32_e32 v4, 3, v5
	v_mul_hi_u32 v33, v4, s1
	v_add_u32_e32 v0, 0x104, v0
	v_lshrrev_b32_e32 v0, 3, v0
	s_mov_b32 s0, 0xffff
	v_add_co_u32_e32 v4, vcc, v2, v8
	v_mul_hi_u32 v0, v0, s1
	v_addc_co_u32_e32 v5, vcc, v32, v9, vcc
	s_waitcnt lgkmcnt(1)
	v_bfi_b32 v9, s0, v30, v17
	v_lshrrev_b32_e32 v2, 2, v33
	v_mov_b32_e32 v3, v1
	s_waitcnt lgkmcnt(0)
	v_bfi_b32 v8, s0, v31, v16
	v_mul_u32_u24_e32 v2, 0x138, v2
	v_lshlrev_b64 v[2:3], 2, v[2:3]
	v_lshrrev_b32_e32 v0, 2, v0
	v_bfi_b32 v29, s0, v29, v12
	v_bfi_b32 v28, s0, v28, v13
	;; [unrolled: 1-line block ×3, first 2 shown]
	v_add_co_u32_e32 v2, vcc, v4, v2
	v_mul_u32_u24_e32 v0, 0x138, v0
	v_addc_co_u32_e32 v3, vcc, v5, v3, vcc
	v_lshlrev_b64 v[0:1], 2, v[0:1]
	v_add_co_u32_e32 v0, vcc, v4, v0
	v_addc_co_u32_e32 v1, vcc, v5, v1, vcc
	s_waitcnt vmcnt(5)
	v_pk_mul_f16 v30, v20, v18 op_sel:[0,1]
	s_waitcnt vmcnt(4)
	v_pk_mul_f16 v31, v21, v19 op_sel:[0,1]
	;; [unrolled: 2-line block ×5, first 2 shown]
	v_pk_fma_f16 v35, v20, v18, v30 op_sel:[0,0,1] op_sel_hi:[1,1,0]
	v_pk_fma_f16 v18, v20, v18, v30 op_sel:[0,0,1] op_sel_hi:[1,0,0] neg_lo:[1,0,0] neg_hi:[1,0,0]
	v_pk_fma_f16 v20, v21, v19, v31 op_sel:[0,0,1] op_sel_hi:[1,1,0]
	v_pk_fma_f16 v19, v21, v19, v31 op_sel:[0,0,1] op_sel_hi:[1,0,0] neg_lo:[1,0,0] neg_hi:[1,0,0]
	;; [unrolled: 2-line block ×5, first 2 shown]
	v_bfi_b32 v18, s0, v35, v18
	v_bfi_b32 v19, s0, v20, v19
	;; [unrolled: 1-line block ×5, first 2 shown]
	v_pk_add_f16 v16, v16, v18 neg_lo:[0,1] neg_hi:[0,1]
	v_pk_add_f16 v17, v17, v19 neg_lo:[0,1] neg_hi:[0,1]
	;; [unrolled: 1-line block ×5, first 2 shown]
	v_pk_fma_f16 v8, v8, 2.0, v16 op_sel_hi:[1,0,1] neg_lo:[0,0,1] neg_hi:[0,0,1]
	global_store_dword v[4:5], v16, off offset:1248
	v_pk_fma_f16 v9, v9, 2.0, v17 op_sel_hi:[1,0,1] neg_lo:[0,0,1] neg_hi:[0,0,1]
	global_store_dword v[4:5], v17, off offset:1456
	;; [unrolled: 2-line block ×4, first 2 shown]
	global_store_dword v[4:5], v8, off
	global_store_dword v[4:5], v9, off offset:208
	global_store_dword v[4:5], v10, off offset:416
	global_store_dword v[4:5], v12, off offset:624
	v_pk_fma_f16 v8, v27, 2.0, v6 op_sel_hi:[1,0,1] neg_lo:[0,0,1] neg_hi:[0,0,1]
	global_store_dword v[2:3], v8, off offset:832
	global_store_dword v[2:3], v6, off offset:2080
	s_waitcnt vmcnt(10)
	v_pk_mul_f16 v3, v7, v25 op_sel:[0,1]
	v_pk_fma_f16 v4, v25, v7, v3 op_sel:[0,0,1] op_sel_hi:[1,1,0]
	v_pk_fma_f16 v3, v25, v7, v3 op_sel:[0,0,1] op_sel_hi:[0,1,0] neg_lo:[0,0,1] neg_hi:[0,0,1]
	v_bfi_b32 v3, s0, v4, v3
	v_bfi_b32 v2, s0, v26, v11
	v_pk_add_f16 v3, v11, v3 neg_lo:[0,1] neg_hi:[0,1]
	v_pk_fma_f16 v2, v2, 2.0, v3 op_sel_hi:[1,0,1] neg_lo:[0,0,1] neg_hi:[0,0,1]
	global_store_dword v[0:1], v2, off offset:1040
	global_store_dword v[0:1], v3, off offset:2288
.LBB0_15:
	s_endpgm
	.section	.rodata,"a",@progbits
	.p2align	6, 0x0
	.amdhsa_kernel fft_rtc_back_len624_factors_13_4_6_2_wgs_52_tpt_52_half_ip_CI_unitstride_sbrr_dirReg
		.amdhsa_group_segment_fixed_size 0
		.amdhsa_private_segment_fixed_size 0
		.amdhsa_kernarg_size 88
		.amdhsa_user_sgpr_count 6
		.amdhsa_user_sgpr_private_segment_buffer 1
		.amdhsa_user_sgpr_dispatch_ptr 0
		.amdhsa_user_sgpr_queue_ptr 0
		.amdhsa_user_sgpr_kernarg_segment_ptr 1
		.amdhsa_user_sgpr_dispatch_id 0
		.amdhsa_user_sgpr_flat_scratch_init 0
		.amdhsa_user_sgpr_private_segment_size 0
		.amdhsa_uses_dynamic_stack 0
		.amdhsa_system_sgpr_private_segment_wavefront_offset 0
		.amdhsa_system_sgpr_workgroup_id_x 1
		.amdhsa_system_sgpr_workgroup_id_y 0
		.amdhsa_system_sgpr_workgroup_id_z 0
		.amdhsa_system_sgpr_workgroup_info 0
		.amdhsa_system_vgpr_workitem_id 0
		.amdhsa_next_free_vgpr 104
		.amdhsa_next_free_sgpr 24
		.amdhsa_reserve_vcc 1
		.amdhsa_reserve_flat_scratch 0
		.amdhsa_float_round_mode_32 0
		.amdhsa_float_round_mode_16_64 0
		.amdhsa_float_denorm_mode_32 3
		.amdhsa_float_denorm_mode_16_64 3
		.amdhsa_dx10_clamp 1
		.amdhsa_ieee_mode 1
		.amdhsa_fp16_overflow 0
		.amdhsa_exception_fp_ieee_invalid_op 0
		.amdhsa_exception_fp_denorm_src 0
		.amdhsa_exception_fp_ieee_div_zero 0
		.amdhsa_exception_fp_ieee_overflow 0
		.amdhsa_exception_fp_ieee_underflow 0
		.amdhsa_exception_fp_ieee_inexact 0
		.amdhsa_exception_int_div_zero 0
	.end_amdhsa_kernel
	.text
.Lfunc_end0:
	.size	fft_rtc_back_len624_factors_13_4_6_2_wgs_52_tpt_52_half_ip_CI_unitstride_sbrr_dirReg, .Lfunc_end0-fft_rtc_back_len624_factors_13_4_6_2_wgs_52_tpt_52_half_ip_CI_unitstride_sbrr_dirReg
                                        ; -- End function
	.section	.AMDGPU.csdata,"",@progbits
; Kernel info:
; codeLenInByte = 7096
; NumSgprs: 28
; NumVgprs: 104
; ScratchSize: 0
; MemoryBound: 0
; FloatMode: 240
; IeeeMode: 1
; LDSByteSize: 0 bytes/workgroup (compile time only)
; SGPRBlocks: 3
; VGPRBlocks: 25
; NumSGPRsForWavesPerEU: 28
; NumVGPRsForWavesPerEU: 104
; Occupancy: 2
; WaveLimiterHint : 1
; COMPUTE_PGM_RSRC2:SCRATCH_EN: 0
; COMPUTE_PGM_RSRC2:USER_SGPR: 6
; COMPUTE_PGM_RSRC2:TRAP_HANDLER: 0
; COMPUTE_PGM_RSRC2:TGID_X_EN: 1
; COMPUTE_PGM_RSRC2:TGID_Y_EN: 0
; COMPUTE_PGM_RSRC2:TGID_Z_EN: 0
; COMPUTE_PGM_RSRC2:TIDIG_COMP_CNT: 0
	.type	__hip_cuid_299f49aabd76ac34,@object ; @__hip_cuid_299f49aabd76ac34
	.section	.bss,"aw",@nobits
	.globl	__hip_cuid_299f49aabd76ac34
__hip_cuid_299f49aabd76ac34:
	.byte	0                               ; 0x0
	.size	__hip_cuid_299f49aabd76ac34, 1

	.ident	"AMD clang version 19.0.0git (https://github.com/RadeonOpenCompute/llvm-project roc-6.4.0 25133 c7fe45cf4b819c5991fe208aaa96edf142730f1d)"
	.section	".note.GNU-stack","",@progbits
	.addrsig
	.addrsig_sym __hip_cuid_299f49aabd76ac34
	.amdgpu_metadata
---
amdhsa.kernels:
  - .args:
      - .actual_access:  read_only
        .address_space:  global
        .offset:         0
        .size:           8
        .value_kind:     global_buffer
      - .offset:         8
        .size:           8
        .value_kind:     by_value
      - .actual_access:  read_only
        .address_space:  global
        .offset:         16
        .size:           8
        .value_kind:     global_buffer
      - .actual_access:  read_only
        .address_space:  global
        .offset:         24
        .size:           8
        .value_kind:     global_buffer
      - .offset:         32
        .size:           8
        .value_kind:     by_value
      - .actual_access:  read_only
        .address_space:  global
        .offset:         40
        .size:           8
        .value_kind:     global_buffer
      - .actual_access:  read_only
        .address_space:  global
        .offset:         48
        .size:           8
        .value_kind:     global_buffer
      - .offset:         56
        .size:           4
        .value_kind:     by_value
      - .actual_access:  read_only
        .address_space:  global
        .offset:         64
        .size:           8
        .value_kind:     global_buffer
      - .actual_access:  read_only
        .address_space:  global
        .offset:         72
        .size:           8
        .value_kind:     global_buffer
      - .address_space:  global
        .offset:         80
        .size:           8
        .value_kind:     global_buffer
    .group_segment_fixed_size: 0
    .kernarg_segment_align: 8
    .kernarg_segment_size: 88
    .language:       OpenCL C
    .language_version:
      - 2
      - 0
    .max_flat_workgroup_size: 52
    .name:           fft_rtc_back_len624_factors_13_4_6_2_wgs_52_tpt_52_half_ip_CI_unitstride_sbrr_dirReg
    .private_segment_fixed_size: 0
    .sgpr_count:     28
    .sgpr_spill_count: 0
    .symbol:         fft_rtc_back_len624_factors_13_4_6_2_wgs_52_tpt_52_half_ip_CI_unitstride_sbrr_dirReg.kd
    .uniform_work_group_size: 1
    .uses_dynamic_stack: false
    .vgpr_count:     104
    .vgpr_spill_count: 0
    .wavefront_size: 64
amdhsa.target:   amdgcn-amd-amdhsa--gfx906
amdhsa.version:
  - 1
  - 2
...

	.end_amdgpu_metadata
